;; amdgpu-corpus repo=ROCm/rocFFT kind=compiled arch=gfx1201 opt=O3
	.text
	.amdgcn_target "amdgcn-amd-amdhsa--gfx1201"
	.amdhsa_code_object_version 6
	.protected	fft_rtc_back_len26_factors_13_2_wgs_64_tpt_2_dim1_dp_op_CI_CI_unitstride_sbrr_R2C_dirReg ; -- Begin function fft_rtc_back_len26_factors_13_2_wgs_64_tpt_2_dim1_dp_op_CI_CI_unitstride_sbrr_R2C_dirReg
	.globl	fft_rtc_back_len26_factors_13_2_wgs_64_tpt_2_dim1_dp_op_CI_CI_unitstride_sbrr_R2C_dirReg
	.p2align	8
	.type	fft_rtc_back_len26_factors_13_2_wgs_64_tpt_2_dim1_dp_op_CI_CI_unitstride_sbrr_R2C_dirReg,@function
fft_rtc_back_len26_factors_13_2_wgs_64_tpt_2_dim1_dp_op_CI_CI_unitstride_sbrr_R2C_dirReg: ; @fft_rtc_back_len26_factors_13_2_wgs_64_tpt_2_dim1_dp_op_CI_CI_unitstride_sbrr_R2C_dirReg
; %bb.0:
	s_load_b64 s[2:3], s[0:1], 0x20
	v_lshrrev_b32_e32 v1, 1, v0
	v_dual_mov_b32 v59, 0 :: v_dual_and_b32 v56, 1, v0
                                        ; implicit-def: $vgpr64
                                        ; implicit-def: $vgpr66
                                        ; implicit-def: $vgpr62
                                        ; implicit-def: $vgpr60
	s_delay_alu instid0(VALU_DEP_2) | instskip(SKIP_1) | instid1(VALU_DEP_1)
	v_lshl_or_b32 v58, ttmp9, 5, v1
	s_wait_kmcnt 0x0
	v_cmp_gt_u64_e32 vcc_lo, s[2:3], v[58:59]
	v_cmp_le_u64_e64 s2, s[2:3], v[58:59]
                                        ; implicit-def: $vgpr59
	s_delay_alu instid0(VALU_DEP_1)
	s_and_saveexec_b32 s3, s2
	s_wait_alu 0xfffe
	s_xor_b32 s2, exec_lo, s3
; %bb.1:
	v_and_b32_e32 v56, 1, v0
	s_delay_alu instid0(VALU_DEP_1)
	v_or_b32_e32 v64, 2, v56
	v_or_b32_e32 v66, 4, v56
	;; [unrolled: 1-line block ×5, first 2 shown]
; %bb.2:
	s_wait_alu 0xfffe
	s_or_saveexec_b32 s3, s2
	s_clause 0x1
	s_load_b64 s[4:5], s[0:1], 0x18
	s_load_b64 s[6:7], s[0:1], 0x0
	v_mul_u32_u24_e32 v0, 27, v1
	s_delay_alu instid0(VALU_DEP_1)
	v_lshlrev_b32_e32 v0, 4, v0
	s_xor_b32 exec_lo, exec_lo, s3
	s_cbranch_execz .LBB0_4
; %bb.3:
	s_clause 0x1
	s_load_b64 s[8:9], s[0:1], 0x10
	s_load_b64 s[10:11], s[0:1], 0x50
	v_lshlrev_b32_e32 v53, 4, v56
	v_or_b32_e32 v64, 2, v56
	v_or_b32_e32 v66, 4, v56
	;; [unrolled: 1-line block ×5, first 2 shown]
	s_wait_kmcnt 0x0
	s_load_b64 s[8:9], s[8:9], 0x8
	s_wait_kmcnt 0x0
	v_mad_co_u64_u32 v[1:2], null, s8, v58, 0
	s_delay_alu instid0(VALU_DEP_1) | instskip(NEXT) | instid1(VALU_DEP_1)
	v_mad_co_u64_u32 v[2:3], null, s9, v58, v[2:3]
	v_lshlrev_b64_e32 v[1:2], 4, v[1:2]
	s_delay_alu instid0(VALU_DEP_1) | instskip(SKIP_1) | instid1(VALU_DEP_2)
	v_add_co_u32 v1, s2, s10, v1
	s_wait_alu 0xf1ff
	v_add_co_ci_u32_e64 v2, s2, s11, v2, s2
	s_delay_alu instid0(VALU_DEP_2) | instskip(SKIP_1) | instid1(VALU_DEP_2)
	v_add_co_u32 v49, s2, v1, v53
	s_wait_alu 0xf1ff
	v_add_co_ci_u32_e64 v50, s2, 0, v2, s2
	v_add3_u32 v53, 0, v0, v53
	s_clause 0xc
	global_load_b128 v[1:4], v[49:50], off
	global_load_b128 v[5:8], v[49:50], off offset:32
	global_load_b128 v[9:12], v[49:50], off offset:64
	;; [unrolled: 1-line block ×12, first 2 shown]
	s_wait_loadcnt 0xc
	ds_store_b128 v53, v[1:4]
	s_wait_loadcnt 0xb
	ds_store_b128 v53, v[5:8] offset:32
	s_wait_loadcnt 0xa
	ds_store_b128 v53, v[9:12] offset:64
	;; [unrolled: 2-line block ×12, first 2 shown]
.LBB0_4:
	s_or_b32 exec_lo, exec_lo, s3
	s_delay_alu instid0(VALU_DEP_1)
	v_add_nc_u32_e32 v72, 0, v0
	v_lshlrev_b32_e32 v74, 4, v56
	s_wait_kmcnt 0x0
	s_load_b64 s[8:9], s[4:5], 0x8
	global_wb scope:SCOPE_SE
	s_wait_dscnt 0x0
	s_wait_kmcnt 0x0
	s_barrier_signal -1
	s_barrier_wait -1
	v_add_nc_u32_e32 v73, v72, v74
	v_add3_u32 v75, 0, v74, v0
	global_inv scope:SCOPE_SE
	s_mov_b32 s14, 0x42a4c3d2
	ds_load_b128 v[4:7], v73
	ds_load_b128 v[20:23], v75 offset:32
	ds_load_b128 v[30:33], v75 offset:64
	;; [unrolled: 1-line block ×3, first 2 shown]
	s_mov_b32 s4, 0x1ea71119
	s_mov_b32 s15, 0xbfea55e2
	s_mov_b32 s5, 0x3fe22d96
	s_mov_b32 s18, 0x66966769
	s_mov_b32 s10, 0xebaa3ed8
	s_mov_b32 s19, 0xbfefc445
	s_mov_b32 s11, 0x3fbedb7d
	s_mov_b32 s12, 0x2ef20147
	s_mov_b32 s20, 0xb2365da1
	s_mov_b32 s13, 0xbfedeba7
	s_mov_b32 s21, 0xbfd6b1d8
	s_mov_b32 s22, 0x24c2f84
	s_mov_b32 s26, 0xd0032e0c
	s_mov_b32 s16, 0x4267c47c
	s_mov_b32 s2, 0xe00740e9
	s_mov_b32 s23, 0xbfe5384d
	s_mov_b32 s24, 0x4bc48dbf
	s_wait_dscnt 0x2
	v_add_f64_e32 v[0:1], v[4:5], v[20:21]
	v_add_f64_e32 v[2:3], v[6:7], v[22:23]
	s_mov_b32 s27, 0xbfe7f3cc
	s_mov_b32 s28, 0x93053d00
	s_mov_b32 s17, 0xbfddbe06
	s_mov_b32 s3, 0x3fec55a7
	s_mov_b32 s25, 0xbfcea1e5
	s_mov_b32 s29, 0xbfef11f4
	s_mov_b32 s37, 0x3fea55e2
	s_mov_b32 s36, s14
	s_mov_b32 s39, 0x3fefc445
	s_mov_b32 s38, s18
	s_mov_b32 s43, 0x3fedeba7
	s_mov_b32 s41, 0x3fe5384d
	s_mov_b32 s42, s12
	s_mov_b32 s40, s22
	s_mov_b32 s31, 0x3fddbe06
	s_mov_b32 s35, 0x3fcea1e5
	s_mov_b32 s30, s16
	s_mov_b32 s34, s24
	s_wait_dscnt 0x1
	s_delay_alu instid0(VALU_DEP_2) | instskip(NEXT) | instid1(VALU_DEP_2)
	v_add_f64_e32 v[24:25], v[0:1], v[30:31]
	v_add_f64_e32 v[26:27], v[2:3], v[32:33]
	ds_load_b128 v[0:3], v75 offset:384
	ds_load_b128 v[12:15], v75 offset:320
	;; [unrolled: 1-line block ×6, first 2 shown]
	s_wait_dscnt 0x4
	v_add_f64_e64 v[96:97], v[40:41], -v[14:15]
	v_add_f64_e64 v[84:85], v[22:23], -v[2:3]
	v_add_f64_e32 v[86:87], v[22:23], v[2:3]
	s_wait_dscnt 0x1
	v_add_f64_e32 v[50:51], v[76:77], v[16:17]
	v_add_f64_e32 v[104:105], v[78:79], v[18:19]
	v_add_f64_e64 v[48:49], v[76:77], -v[16:17]
	v_add_f64_e64 v[106:107], v[78:79], -v[18:19]
	;; [unrolled: 1-line block ×3, first 2 shown]
	v_add_f64_e32 v[94:95], v[32:33], v[10:11]
	v_add_f64_e32 v[98:99], v[20:21], v[0:1]
	v_add_f64_e64 v[100:101], v[20:21], -v[0:1]
	v_add_f64_e32 v[69:70], v[30:31], v[8:9]
	v_add_f64_e64 v[67:68], v[30:31], -v[8:9]
	v_add_f64_e32 v[102:103], v[40:41], v[14:15]
	v_add_f64_e32 v[54:55], v[38:39], v[12:13]
	v_add_f64_e64 v[52:53], v[38:39], -v[12:13]
	v_add_f64_e32 v[88:89], v[24:25], v[38:39]
	v_add_f64_e32 v[90:91], v[26:27], v[40:41]
	ds_load_b128 v[22:25], v75 offset:256
	ds_load_b128 v[34:37], v75 offset:192
	ds_load_b128 v[26:29], v75 offset:224
	global_wb scope:SCOPE_SE
	s_wait_dscnt 0x0
	s_barrier_signal -1
	s_barrier_wait -1
	global_inv scope:SCOPE_SE
	v_mul_f64_e32 v[128:129], s[24:25], v[96:97]
	v_mul_f64_e32 v[112:113], s[14:15], v[84:85]
	;; [unrolled: 1-line block ×4, first 2 shown]
	s_wait_alu 0xfffe
	v_mul_f64_e32 v[118:119], s[10:11], v[86:87]
	v_mul_f64_e32 v[120:121], s[12:13], v[84:85]
	;; [unrolled: 1-line block ×7, first 2 shown]
	v_add_f64_e32 v[30:31], v[34:35], v[26:27]
	v_add_f64_e32 v[40:41], v[36:37], v[28:29]
	v_add_f64_e64 v[20:21], v[34:35], -v[26:27]
	v_add_f64_e64 v[42:43], v[36:37], -v[28:29]
	v_mul_f64_e32 v[130:131], s[24:25], v[92:93]
	v_add_f64_e32 v[76:77], v[88:89], v[76:77]
	v_add_f64_e32 v[78:79], v[90:91], v[78:79]
	v_mul_f64_e32 v[88:89], s[22:23], v[84:85]
	v_mul_f64_e32 v[90:91], s[26:27], v[86:87]
	;; [unrolled: 1-line block ×14, first 2 shown]
	v_add_f64_e32 v[38:39], v[80:81], v[22:23]
	v_add_f64_e32 v[44:45], v[82:83], v[24:25]
	v_add_f64_e64 v[32:33], v[80:81], -v[22:23]
	v_add_f64_e64 v[46:47], v[82:83], -v[24:25]
	v_mul_f64_e32 v[134:135], s[42:43], v[96:97]
	v_mul_f64_e32 v[140:141], s[30:31], v[96:97]
	;; [unrolled: 1-line block ×3, first 2 shown]
	v_fma_f64 v[184:185], v[98:99], s[4:5], v[112:113]
	v_fma_f64 v[186:187], v[100:101], s[36:37], v[114:115]
	;; [unrolled: 1-line block ×8, first 2 shown]
	v_fma_f64 v[108:109], v[98:99], s[2:3], -v[108:109]
	v_fma_f64 v[110:111], v[100:101], s[16:17], v[110:111]
	v_fma_f64 v[112:113], v[98:99], s[4:5], -v[112:113]
	v_fma_f64 v[114:115], v[100:101], s[14:15], v[114:115]
	;; [unrolled: 2-line block ×3, first 2 shown]
	v_fma_f64 v[120:121], v[98:99], s[20:21], -v[120:121]
	v_add_f64_e32 v[76:77], v[76:77], v[80:81]
	v_add_f64_e32 v[78:79], v[78:79], v[82:83]
	v_fma_f64 v[196:197], v[98:99], s[26:27], v[88:89]
	v_fma_f64 v[198:199], v[100:101], s[40:41], v[90:91]
	;; [unrolled: 1-line block ×5, first 2 shown]
	v_fma_f64 v[88:89], v[98:99], s[26:27], -v[88:89]
	v_fma_f64 v[90:91], v[100:101], s[22:23], v[90:91]
	v_fma_f64 v[84:85], v[98:99], s[28:29], -v[84:85]
	v_fma_f64 v[86:87], v[100:101], s[24:25], v[86:87]
	v_fma_f64 v[98:99], v[69:70], s[20:21], v[124:125]
	;; [unrolled: 1-line block ×3, first 2 shown]
	v_mul_f64_e32 v[152:153], s[22:23], v[96:97]
	v_mul_f64_e32 v[96:97], s[18:19], v[96:97]
	;; [unrolled: 1-line block ×10, first 2 shown]
	v_add_f64_e32 v[184:185], v[4:5], v[184:185]
	v_add_f64_e32 v[186:187], v[6:7], v[186:187]
	v_mul_f64_e32 v[170:171], s[30:31], v[106:107]
	v_mul_f64_e32 v[172:173], s[18:19], v[106:107]
	;; [unrolled: 1-line block ×9, first 2 shown]
	v_fma_f64 v[206:207], v[69:70], s[28:29], v[130:131]
	v_fma_f64 v[208:209], v[67:68], s[34:35], v[132:133]
	v_add_f64_e32 v[188:189], v[4:5], v[188:189]
	v_add_f64_e32 v[190:191], v[6:7], v[190:191]
	;; [unrolled: 1-line block ×4, first 2 shown]
	v_fma_f64 v[212:213], v[69:70], s[26:27], v[136:137]
	v_fma_f64 v[214:215], v[67:68], s[22:23], v[138:139]
	v_add_f64_e32 v[192:193], v[4:5], v[192:193]
	v_add_f64_e32 v[194:195], v[6:7], v[194:195]
	v_fma_f64 v[78:79], v[69:70], s[10:11], v[142:143]
	v_fma_f64 v[216:217], v[67:68], s[18:19], v[144:145]
	v_add_f64_e32 v[196:197], v[4:5], v[196:197]
	v_add_f64_e32 v[198:199], v[6:7], v[198:199]
	;; [unrolled: 4-line block ×3, first 2 shown]
	v_fma_f64 v[148:149], v[69:70], s[2:3], -v[148:149]
	v_fma_f64 v[150:151], v[67:68], s[30:31], v[150:151]
	v_add_f64_e32 v[180:181], v[4:5], v[180:181]
	v_add_f64_e32 v[182:183], v[6:7], v[182:183]
	;; [unrolled: 1-line block ×14, first 2 shown]
	v_fma_f64 v[224:225], v[69:70], s[4:5], v[92:93]
	v_fma_f64 v[92:93], v[69:70], s[4:5], -v[92:93]
	v_fma_f64 v[124:125], v[69:70], s[20:21], -v[124:125]
	;; [unrolled: 1-line block ×5, first 2 shown]
	v_fma_f64 v[142:143], v[67:68], s[36:37], v[94:95]
	v_fma_f64 v[94:95], v[67:68], s[14:15], v[94:95]
	v_add_f64_e32 v[26:27], v[34:35], v[26:27]
	v_add_f64_e32 v[28:29], v[36:37], v[28:29]
	v_fma_f64 v[126:127], v[67:68], s[12:13], v[126:127]
	v_fma_f64 v[132:133], v[67:68], s[24:25], v[132:133]
	;; [unrolled: 1-line block ×6, first 2 shown]
	v_add_f64_e32 v[98:99], v[98:99], v[184:185]
	v_add_f64_e32 v[100:101], v[100:101], v[186:187]
	v_fma_f64 v[210:211], v[54:55], s[20:21], v[134:135]
	v_fma_f64 v[76:77], v[54:55], s[2:3], v[140:141]
	;; [unrolled: 1-line block ×3, first 2 shown]
	v_fma_f64 v[152:153], v[54:55], s[26:27], -v[152:153]
	v_fma_f64 v[144:145], v[54:55], s[10:11], v[96:97]
	v_fma_f64 v[96:97], v[54:55], s[10:11], -v[96:97]
	v_fma_f64 v[128:129], v[54:55], s[28:29], -v[128:129]
	;; [unrolled: 1-line block ×4, first 2 shown]
	v_fma_f64 v[226:227], v[54:55], s[4:5], v[146:147]
	v_fma_f64 v[54:55], v[54:55], s[4:5], -v[146:147]
	v_fma_f64 v[146:147], v[52:53], s[40:41], v[154:155]
	v_fma_f64 v[154:155], v[52:53], s[22:23], v[154:155]
	;; [unrolled: 1-line block ×12, first 2 shown]
	v_fma_f64 v[164:165], v[50:51], s[4:5], -v[164:165]
	v_fma_f64 v[234:235], v[50:51], s[20:21], v[166:167]
	v_fma_f64 v[166:167], v[50:51], s[20:21], -v[166:167]
	v_fma_f64 v[84:85], v[50:51], s[26:27], v[168:169]
	;; [unrolled: 2-line block ×3, first 2 shown]
	v_fma_f64 v[170:171], v[50:51], s[2:3], -v[170:171]
	v_add_f64_e32 v[22:23], v[26:27], v[22:23]
	v_add_f64_e32 v[24:25], v[28:29], v[24:25]
	v_fma_f64 v[26:27], v[50:51], s[10:11], v[172:173]
	v_fma_f64 v[28:29], v[50:51], s[10:11], -v[172:173]
	v_fma_f64 v[172:173], v[50:51], s[28:29], v[106:107]
	v_fma_f64 v[50:51], v[50:51], s[28:29], -v[106:107]
	v_fma_f64 v[106:107], v[48:49], s[14:15], v[174:175]
	v_fma_f64 v[174:175], v[48:49], s[36:37], v[174:175]
	;; [unrolled: 1-line block ×12, first 2 shown]
	v_add_f64_e32 v[104:105], v[206:207], v[188:189]
	v_add_f64_e32 v[184:185], v[208:209], v[190:191]
	v_add_f64_e32 v[186:187], v[212:213], v[192:193]
	v_add_f64_e32 v[190:191], v[214:215], v[194:195]
	v_add_f64_e32 v[78:79], v[78:79], v[196:197]
	v_add_f64_e32 v[196:197], v[216:217], v[198:199]
	v_add_f64_e32 v[200:201], v[218:219], v[200:201]
	v_add_f64_e32 v[202:203], v[220:221], v[202:203]
	v_add_f64_e32 v[4:5], v[148:149], v[4:5]
	v_add_f64_e32 v[6:7], v[150:151], v[6:7]
	v_add_f64_e32 v[69:70], v[69:70], v[88:89]
	v_add_f64_e32 v[67:68], v[67:68], v[90:91]
	v_add_f64_e32 v[92:93], v[92:93], v[108:109]
	v_add_f64_e32 v[94:95], v[94:95], v[110:111]
	v_add_f64_e32 v[112:113], v[124:125], v[112:113]
	v_add_f64_e32 v[114:115], v[126:127], v[114:115]
	v_add_f64_e32 v[116:117], v[130:131], v[116:117]
	v_add_f64_e32 v[118:119], v[132:133], v[118:119]
	v_add_f64_e32 v[120:121], v[136:137], v[120:121]
	v_add_f64_e32 v[122:123], v[138:139], v[122:123]
	v_add_f64_e32 v[180:181], v[224:225], v[180:181]
	v_add_f64_e32 v[142:143], v[142:143], v[182:183]
	v_mul_f64_e32 v[188:189], s[12:13], v[46:47]
	v_mul_f64_e32 v[192:193], s[22:23], v[46:47]
	v_mul_f64_e32 v[194:195], s[38:39], v[46:47]
	v_mul_f64_e32 v[198:199], s[14:15], v[46:47]
	v_mul_f64_e32 v[206:207], s[34:35], v[46:47]
	v_mul_f64_e32 v[46:47], s[30:31], v[46:47]
	v_mul_f64_e32 v[208:209], s[10:11], v[44:45]
	v_add_f64_e32 v[98:99], v[204:205], v[98:99]
	v_add_f64_e32 v[100:101], v[230:231], v[100:101]
	v_mul_f64_e32 v[150:151], s[4:5], v[44:45]
	v_mul_f64_e32 v[212:213], s[28:29], v[44:45]
	;; [unrolled: 1-line block ×5, first 2 shown]
	v_add_f64_e32 v[16:17], v[22:23], v[16:17]
	v_add_f64_e32 v[18:19], v[24:25], v[18:19]
	;; [unrolled: 1-line block ×24, first 2 shown]
	v_mul_f64_e32 v[148:149], s[30:31], v[42:43]
	v_mul_f64_e32 v[110:111], s[2:3], v[40:41]
	v_fma_f64 v[204:205], v[38:39], s[20:21], v[188:189]
	v_fma_f64 v[188:189], v[38:39], s[20:21], -v[188:189]
	v_fma_f64 v[214:215], v[38:39], s[26:27], v[192:193]
	v_fma_f64 v[192:193], v[38:39], s[26:27], -v[192:193]
	v_fma_f64 v[210:211], v[38:39], s[10:11], v[194:195]
	v_fma_f64 v[194:195], v[38:39], s[10:11], -v[194:195]
	v_fma_f64 v[216:217], v[38:39], s[4:5], v[198:199]
	v_fma_f64 v[198:199], v[38:39], s[4:5], -v[198:199]
	v_fma_f64 v[186:187], v[38:39], s[28:29], v[206:207]
	v_fma_f64 v[206:207], v[38:39], s[28:29], -v[206:207]
	v_fma_f64 v[22:23], v[38:39], s[2:3], v[46:47]
	v_fma_f64 v[38:39], v[38:39], s[2:3], -v[46:47]
	v_fma_f64 v[46:47], v[32:33], s[18:19], v[208:209]
	v_add_f64_e32 v[84:85], v[84:85], v[98:99]
	v_add_f64_e32 v[98:99], v[238:239], v[100:101]
	v_mul_f64_e32 v[124:125], s[22:23], v[42:43]
	v_mul_f64_e32 v[126:127], s[26:27], v[40:41]
	v_fma_f64 v[154:155], v[32:33], s[36:37], v[150:151]
	v_add_f64_e32 v[24:25], v[168:169], v[104:105]
	v_add_f64_e32 v[100:101], v[240:241], v[184:185]
	v_mul_f64_e32 v[130:131], s[36:37], v[42:43]
	v_mul_f64_e32 v[132:133], s[4:5], v[40:41]
	;; [unrolled: 5-line block ×4, first 2 shown]
	v_fma_f64 v[202:203], v[32:33], s[42:43], v[108:109]
	v_add_f64_e32 v[102:103], v[102:103], v[190:191]
	v_add_f64_e32 v[104:105], v[106:107], v[146:147]
	v_fma_f64 v[69:70], v[32:33], s[12:13], v[108:109]
	v_add_f64_e32 v[4:5], v[164:165], v[4:5]
	v_add_f64_e32 v[6:7], v[174:175], v[6:7]
	v_fma_f64 v[142:143], v[32:33], s[14:15], v[150:151]
	v_fma_f64 v[150:151], v[32:33], s[30:31], v[182:183]
	v_add_f64_e32 v[50:51], v[50:51], v[54:55]
	v_add_f64_e32 v[48:49], v[48:49], v[52:53]
	v_mul_f64_e32 v[42:43], s[24:25], v[42:43]
	v_fma_f64 v[128:129], v[32:33], s[22:23], v[44:45]
	v_fma_f64 v[146:147], v[32:33], s[34:35], v[212:213]
	v_add_f64_e32 v[92:93], v[166:167], v[92:93]
	v_add_f64_e32 v[94:95], v[176:177], v[94:95]
	;; [unrolled: 1-line block ×7, first 2 shown]
	v_fma_f64 v[140:141], v[32:33], s[38:39], v[208:209]
	v_add_f64_e32 v[80:81], v[80:81], v[112:113]
	v_mul_f64_e32 v[40:41], s[28:29], v[40:41]
	v_add_f64_e32 v[144:145], v[234:235], v[144:145]
	v_fma_f64 v[32:33], v[32:33], s[40:41], v[44:45]
	v_add_f64_e32 v[44:45], v[236:237], v[122:123]
	v_add_f64_e32 v[12:13], v[16:17], v[12:13]
	;; [unrolled: 1-line block ×3, first 2 shown]
	v_fma_f64 v[152:153], v[30:31], s[2:3], v[148:149]
	v_fma_f64 v[67:68], v[20:21], s[16:17], v[110:111]
	v_add_f64_e32 v[84:85], v[210:211], v[84:85]
	v_add_f64_e32 v[46:47], v[46:47], v[98:99]
	v_fma_f64 v[108:109], v[30:31], s[26:27], v[124:125]
	v_fma_f64 v[120:121], v[20:21], s[40:41], v[126:127]
	v_add_f64_e32 v[18:19], v[216:217], v[24:25]
	v_add_f64_e32 v[24:25], v[154:155], v[100:101]
	;; [unrolled: 4-line block ×5, first 2 shown]
	v_add_f64_e32 v[4:5], v[188:189], v[4:5]
	v_add_f64_e32 v[6:7], v[69:70], v[6:7]
	v_fma_f64 v[69:70], v[30:31], s[10:11], -v[88:89]
	v_fma_f64 v[88:89], v[20:21], s[38:39], v[90:91]
	v_fma_f64 v[116:117], v[30:31], s[20:21], -v[136:137]
	v_add_f64_e32 v[38:39], v[38:39], v[50:51]
	v_add_f64_e32 v[48:49], v[150:151], v[48:49]
	v_fma_f64 v[50:51], v[20:21], s[12:13], v[138:139]
	v_fma_f64 v[90:91], v[30:31], s[28:29], v[42:43]
	v_fma_f64 v[42:43], v[30:31], s[28:29], -v[42:43]
	v_fma_f64 v[104:105], v[30:31], s[26:27], -v[124:125]
	;; [unrolled: 1-line block ×3, first 2 shown]
	v_add_f64_e32 v[92:93], v[192:193], v[92:93]
	v_add_f64_e32 v[94:95], v[128:129], v[94:95]
	;; [unrolled: 1-line block ×4, first 2 shown]
	v_fma_f64 v[128:129], v[20:21], s[36:37], v[132:133]
	v_add_f64_e32 v[96:97], v[198:199], v[96:97]
	v_add_f64_e32 v[82:83], v[142:143], v[82:83]
	v_fma_f64 v[126:127], v[20:21], s[22:23], v[126:127]
	v_fma_f64 v[102:103], v[30:31], s[2:3], -v[148:149]
	v_add_f64_e32 v[86:87], v[194:195], v[86:87]
	v_add_f64_e32 v[80:81], v[140:141], v[80:81]
	v_fma_f64 v[110:111], v[20:21], s[30:31], v[110:111]
	v_fma_f64 v[130:131], v[20:21], s[24:25], v[40:41]
	v_add_f64_e32 v[118:119], v[214:215], v[144:145]
	v_add_f64_e32 v[132:133], v[32:33], v[44:45]
	v_fma_f64 v[136:137], v[20:21], s[34:35], v[40:41]
	v_add_f64_e32 v[100:101], v[12:13], v[8:9]
	v_add_f64_e32 v[138:139], v[14:15], v[10:11]
	;; [unrolled: 1-line block ×14, first 2 shown]
	v_mov_b32_e32 v69, 0
	v_add_f64_e32 v[44:45], v[116:117], v[38:39]
	v_mad_u32_u24 v52, 0xd0, v56, v72
	v_add_f64_e32 v[46:47], v[50:51], v[48:49]
	v_lshl_add_u32 v79, v66, 4, v72
	v_lshl_add_u32 v78, v62, 4, v72
	;; [unrolled: 1-line block ×4, first 2 shown]
	v_add_f64_e32 v[4:5], v[42:43], v[92:93]
	v_mov_b32_e32 v70, 0
	v_add_f64_e32 v[40:41], v[114:115], v[122:123]
	v_cmp_ne_u32_e64 s3, 0, v56
	v_add_f64_e32 v[42:43], v[128:129], v[124:125]
	v_add_f64_e32 v[36:37], v[104:105], v[96:97]
	v_cmp_eq_u32_e64 s2, 0, v56
	v_add_f64_e32 v[38:39], v[126:127], v[82:83]
	v_add_f64_e32 v[32:33], v[102:103], v[86:87]
	;; [unrolled: 1-line block ×5, first 2 shown]
	v_lshl_add_u32 v80, v64, 4, v72
	v_add_f64_e32 v[50:51], v[136:137], v[132:133]
	v_add_f64_e32 v[0:1], v[100:101], v[0:1]
	;; [unrolled: 1-line block ×3, first 2 shown]
	ds_store_b128 v52, v[8:11] offset:32
	ds_store_b128 v52, v[12:15] offset:48
	;; [unrolled: 1-line block ×12, first 2 shown]
	ds_store_b128 v52, v[0:3]
	global_wb scope:SCOPE_SE
	s_wait_dscnt 0x0
	s_barrier_signal -1
	s_barrier_wait -1
	global_inv scope:SCOPE_SE
	ds_load_b128 v[8:11], v73
	ds_load_b128 v[32:35], v75 offset:208
	ds_load_b128 v[40:43], v75 offset:240
	;; [unrolled: 1-line block ×3, first 2 shown]
	ds_load_b128 v[20:23], v79
	ds_load_b128 v[16:19], v78
	ds_load_b128 v[48:51], v75 offset:304
	ds_load_b128 v[44:47], v75 offset:336
	ds_load_b128 v[24:27], v77
	ds_load_b128 v[12:15], v76
	;; [unrolled: 1-line block ×3, first 2 shown]
	ds_load_b128 v[52:55], v75 offset:368
                                        ; implicit-def: $vgpr2_vgpr3
	s_and_saveexec_b32 s4, s2
	s_cbranch_execz .LBB0_6
; %bb.5:
	ds_load_b128 v[4:7], v72 offset:192
	ds_load_b128 v[0:3], v72 offset:400
	v_mov_b32_e32 v69, 12
	v_mov_b32_e32 v70, 0
.LBB0_6:
	s_wait_alu 0xfffe
	s_or_b32 exec_lo, exec_lo, s4
	v_mov_b32_e32 v57, 0
	s_delay_alu instid0(VALU_DEP_1)
	v_mov_b32_e32 v65, v57
	v_lshlrev_b64_e32 v[70:71], 4, v[56:57]
	v_mov_b32_e32 v67, v57
	v_mov_b32_e32 v63, v57
	;; [unrolled: 1-line block ×3, first 2 shown]
	v_lshlrev_b64_e32 v[64:65], 4, v[64:65]
	s_delay_alu instid0(VALU_DEP_4) | instskip(SKIP_3) | instid1(VALU_DEP_4)
	v_lshlrev_b64_e32 v[81:82], 4, v[66:67]
	v_add_co_u32 v70, s4, s6, v70
	s_wait_alu 0xf1ff
	v_add_co_ci_u32_e64 v71, s4, s7, v71, s4
	v_add_co_u32 v67, s4, s6, v64
	v_lshlrev_b64_e32 v[63:64], 4, v[62:63]
	v_lshlrev_b64_e32 v[61:62], 4, v[60:61]
	v_mov_b32_e32 v60, v57
	s_wait_alu 0xf1ff
	v_add_co_ci_u32_e64 v68, s4, s7, v65, s4
	v_add_co_u32 v65, s4, s6, v81
	s_wait_alu 0xf1ff
	v_add_co_ci_u32_e64 v66, s4, s7, v82, s4
	v_add_co_u32 v63, s4, s6, v63
	v_lshlrev_b64_e32 v[59:60], 4, v[59:60]
	s_wait_alu 0xf1ff
	v_add_co_ci_u32_e64 v64, s4, s7, v64, s4
	v_add_co_u32 v61, s4, s6, v61
	s_clause 0x2
	global_load_b128 v[81:84], v[70:71], off
	global_load_b128 v[85:88], v[67:68], off
	;; [unrolled: 1-line block ×3, first 2 shown]
	s_wait_alu 0xf1ff
	v_add_co_ci_u32_e64 v62, s4, s7, v62, s4
	v_add_co_u32 v59, s4, s6, v59
	s_wait_alu 0xf1ff
	v_add_co_ci_u32_e64 v60, s4, s7, v60, s4
	s_clause 0x2
	global_load_b128 v[93:96], v[63:64], off
	global_load_b128 v[97:100], v[61:62], off
	;; [unrolled: 1-line block ×3, first 2 shown]
	global_wb scope:SCOPE_SE
	s_wait_loadcnt_dscnt 0x0
	s_barrier_signal -1
	s_barrier_wait -1
	global_inv scope:SCOPE_SE
	v_mul_f64_e32 v[105:106], v[34:35], v[83:84]
	v_mul_f64_e32 v[83:84], v[32:33], v[83:84]
	;; [unrolled: 1-line block ×12, first 2 shown]
	v_fma_f64 v[32:33], v[32:33], v[81:82], v[105:106]
	v_fma_f64 v[34:35], v[34:35], v[81:82], -v[83:84]
	v_fma_f64 v[40:41], v[40:41], v[85:86], v[107:108]
	v_fma_f64 v[42:43], v[42:43], v[85:86], -v[87:88]
	;; [unrolled: 2-line block ×6, first 2 shown]
	v_add_f64_e64 v[32:33], v[8:9], -v[32:33]
	v_add_f64_e64 v[34:35], v[10:11], -v[34:35]
	;; [unrolled: 1-line block ×12, first 2 shown]
	v_fma_f64 v[8:9], v[8:9], 2.0, -v[32:33]
	v_fma_f64 v[10:11], v[10:11], 2.0, -v[34:35]
	;; [unrolled: 1-line block ×12, first 2 shown]
	ds_store_b128 v75, v[8:11]
	ds_store_b128 v75, v[32:35] offset:208
	ds_store_b128 v80, v[28:31]
	ds_store_b128 v80, v[36:39] offset:208
	;; [unrolled: 2-line block ×6, first 2 shown]
	s_and_saveexec_b32 s4, s2
	s_cbranch_execz .LBB0_8
; %bb.7:
	v_lshlrev_b32_e32 v8, 4, v69
	global_load_b128 v[8:11], v8, s[6:7]
	s_wait_loadcnt 0x0
	v_mul_f64_e32 v[12:13], v[0:1], v[10:11]
	v_mul_f64_e32 v[10:11], v[2:3], v[10:11]
	s_delay_alu instid0(VALU_DEP_2) | instskip(NEXT) | instid1(VALU_DEP_2)
	v_fma_f64 v[2:3], v[2:3], v[8:9], -v[12:13]
	v_fma_f64 v[0:1], v[0:1], v[8:9], v[10:11]
	s_delay_alu instid0(VALU_DEP_2) | instskip(NEXT) | instid1(VALU_DEP_2)
	v_add_f64_e64 v[2:3], v[6:7], -v[2:3]
	v_add_f64_e64 v[0:1], v[4:5], -v[0:1]
	s_delay_alu instid0(VALU_DEP_2) | instskip(NEXT) | instid1(VALU_DEP_2)
	v_fma_f64 v[6:7], v[6:7], 2.0, -v[2:3]
	v_fma_f64 v[4:5], v[4:5], 2.0, -v[0:1]
	ds_store_b128 v72, v[4:7] offset:192
	ds_store_b128 v72, v[0:3] offset:400
.LBB0_8:
	s_wait_alu 0xfffe
	s_or_b32 exec_lo, exec_lo, s4
	global_wb scope:SCOPE_SE
	s_wait_dscnt 0x0
	s_barrier_signal -1
	s_barrier_wait -1
	global_inv scope:SCOPE_SE
	ds_load_b128 v[8:11], v73
	v_sub_nc_u32_e32 v12, v72, v74
                                        ; implicit-def: $vgpr2_vgpr3
                                        ; implicit-def: $vgpr6_vgpr7
	s_and_saveexec_b32 s4, s3
	s_wait_alu 0xfffe
	s_xor_b32 s3, exec_lo, s4
	s_cbranch_execz .LBB0_10
; %bb.9:
	global_load_b128 v[2:5], v[70:71], off offset:208
	ds_load_b128 v[13:16], v12 offset:416
	s_wait_dscnt 0x0
	v_add_f64_e64 v[0:1], v[8:9], -v[13:14]
	v_add_f64_e32 v[6:7], v[10:11], v[15:16]
	v_add_f64_e64 v[10:11], v[10:11], -v[15:16]
	s_delay_alu instid0(VALU_DEP_3) | instskip(SKIP_1) | instid1(VALU_DEP_4)
	v_mul_f64_e32 v[15:16], 0.5, v[0:1]
	v_add_f64_e32 v[0:1], v[8:9], v[13:14]
	v_mul_f64_e32 v[8:9], 0.5, v[6:7]
	s_delay_alu instid0(VALU_DEP_4) | instskip(SKIP_1) | instid1(VALU_DEP_4)
	v_mul_f64_e32 v[6:7], 0.5, v[10:11]
	s_wait_loadcnt 0x0
	v_mul_f64_e32 v[10:11], v[15:16], v[4:5]
	s_delay_alu instid0(VALU_DEP_2) | instskip(NEXT) | instid1(VALU_DEP_2)
	v_fma_f64 v[13:14], v[8:9], v[4:5], v[6:7]
	v_fma_f64 v[17:18], v[0:1], 0.5, v[10:11]
	v_fma_f64 v[0:1], v[0:1], 0.5, -v[10:11]
	v_fma_f64 v[10:11], v[8:9], v[4:5], -v[6:7]
	s_delay_alu instid0(VALU_DEP_4) | instskip(NEXT) | instid1(VALU_DEP_4)
	v_fma_f64 v[6:7], -v[2:3], v[15:16], v[13:14]
	v_fma_f64 v[4:5], v[8:9], v[2:3], v[17:18]
	s_delay_alu instid0(VALU_DEP_4) | instskip(NEXT) | instid1(VALU_DEP_4)
	v_fma_f64 v[0:1], -v[8:9], v[2:3], v[0:1]
	v_fma_f64 v[2:3], -v[2:3], v[15:16], v[10:11]
                                        ; implicit-def: $vgpr8_vgpr9
.LBB0_10:
	s_wait_alu 0xfffe
	s_and_not1_saveexec_b32 s3, s3
	s_cbranch_execz .LBB0_12
; %bb.11:
	s_wait_dscnt 0x0
	v_add_f64_e32 v[4:5], v[8:9], v[10:11]
	v_add_f64_e64 v[0:1], v[8:9], -v[10:11]
	ds_load_b64 v[8:9], v72 offset:216
	v_mov_b32_e32 v6, 0
	v_mov_b32_e32 v7, 0
	s_delay_alu instid0(VALU_DEP_1)
	v_dual_mov_b32 v2, v6 :: v_dual_mov_b32 v3, v7
	s_wait_dscnt 0x0
	v_xor_b32_e32 v9, 0x80000000, v9
	ds_store_b64 v72, v[8:9] offset:216
.LBB0_12:
	s_wait_alu 0xfffe
	s_or_b32 exec_lo, exec_lo, s3
	s_wait_dscnt 0x0
	s_clause 0x1
	global_load_b128 v[8:11], v[67:68], off offset:208
	global_load_b128 v[13:16], v[65:66], off offset:208
	ds_store_b128 v73, v[4:7]
	ds_store_b128 v12, v[0:3] offset:416
	ds_load_b128 v[0:3], v80
	ds_load_b128 v[4:7], v12 offset:384
	s_wait_dscnt 0x0
	v_add_f64_e64 v[17:18], v[0:1], -v[4:5]
	v_add_f64_e32 v[19:20], v[2:3], v[6:7]
	v_add_f64_e64 v[2:3], v[2:3], -v[6:7]
	v_add_f64_e32 v[0:1], v[0:1], v[4:5]
	s_delay_alu instid0(VALU_DEP_4) | instskip(NEXT) | instid1(VALU_DEP_4)
	v_mul_f64_e32 v[6:7], 0.5, v[17:18]
	v_mul_f64_e32 v[17:18], 0.5, v[19:20]
	s_delay_alu instid0(VALU_DEP_4) | instskip(SKIP_1) | instid1(VALU_DEP_3)
	v_mul_f64_e32 v[2:3], 0.5, v[2:3]
	s_wait_loadcnt 0x1
	v_mul_f64_e32 v[4:5], v[6:7], v[10:11]
	s_delay_alu instid0(VALU_DEP_2) | instskip(SKIP_1) | instid1(VALU_DEP_3)
	v_fma_f64 v[19:20], v[17:18], v[10:11], v[2:3]
	v_fma_f64 v[10:11], v[17:18], v[10:11], -v[2:3]
	v_fma_f64 v[21:22], v[0:1], 0.5, v[4:5]
	v_fma_f64 v[4:5], v[0:1], 0.5, -v[4:5]
	s_delay_alu instid0(VALU_DEP_4) | instskip(NEXT) | instid1(VALU_DEP_4)
	v_fma_f64 v[2:3], -v[8:9], v[6:7], v[19:20]
	v_fma_f64 v[6:7], -v[8:9], v[6:7], v[10:11]
	s_delay_alu instid0(VALU_DEP_4) | instskip(NEXT) | instid1(VALU_DEP_4)
	v_fma_f64 v[0:1], v[17:18], v[8:9], v[21:22]
	v_fma_f64 v[4:5], -v[17:18], v[8:9], v[4:5]
	global_load_b128 v[8:11], v[63:64], off offset:208
	ds_store_b128 v80, v[0:3]
	ds_store_b128 v12, v[4:7] offset:384
	ds_load_b128 v[0:3], v79
	ds_load_b128 v[4:7], v12 offset:352
	s_wait_dscnt 0x0
	v_add_f64_e64 v[17:18], v[0:1], -v[4:5]
	v_add_f64_e32 v[19:20], v[2:3], v[6:7]
	v_add_f64_e64 v[2:3], v[2:3], -v[6:7]
	v_add_f64_e32 v[0:1], v[0:1], v[4:5]
	s_delay_alu instid0(VALU_DEP_4) | instskip(NEXT) | instid1(VALU_DEP_4)
	v_mul_f64_e32 v[6:7], 0.5, v[17:18]
	v_mul_f64_e32 v[17:18], 0.5, v[19:20]
	s_delay_alu instid0(VALU_DEP_4) | instskip(SKIP_1) | instid1(VALU_DEP_3)
	v_mul_f64_e32 v[2:3], 0.5, v[2:3]
	s_wait_loadcnt 0x1
	v_mul_f64_e32 v[4:5], v[6:7], v[15:16]
	s_delay_alu instid0(VALU_DEP_2) | instskip(SKIP_1) | instid1(VALU_DEP_3)
	v_fma_f64 v[19:20], v[17:18], v[15:16], v[2:3]
	v_fma_f64 v[15:16], v[17:18], v[15:16], -v[2:3]
	v_fma_f64 v[21:22], v[0:1], 0.5, v[4:5]
	v_fma_f64 v[4:5], v[0:1], 0.5, -v[4:5]
	s_delay_alu instid0(VALU_DEP_4) | instskip(NEXT) | instid1(VALU_DEP_4)
	v_fma_f64 v[2:3], -v[13:14], v[6:7], v[19:20]
	v_fma_f64 v[6:7], -v[13:14], v[6:7], v[15:16]
	s_delay_alu instid0(VALU_DEP_4) | instskip(NEXT) | instid1(VALU_DEP_4)
	v_fma_f64 v[0:1], v[17:18], v[13:14], v[21:22]
	v_fma_f64 v[4:5], -v[17:18], v[13:14], v[4:5]
	;; [unrolled: 28-line block ×4, first 2 shown]
	ds_store_b128 v77, v[0:3]
	ds_store_b128 v12, v[4:7] offset:288
	ds_load_b128 v[0:3], v76
	ds_load_b128 v[4:7], v12 offset:256
	s_wait_dscnt 0x0
	v_add_f64_e64 v[13:14], v[0:1], -v[4:5]
	v_add_f64_e32 v[15:16], v[2:3], v[6:7]
	v_add_f64_e64 v[2:3], v[2:3], -v[6:7]
	v_add_f64_e32 v[0:1], v[0:1], v[4:5]
	s_delay_alu instid0(VALU_DEP_4) | instskip(NEXT) | instid1(VALU_DEP_4)
	v_mul_f64_e32 v[6:7], 0.5, v[13:14]
	v_mul_f64_e32 v[13:14], 0.5, v[15:16]
	s_delay_alu instid0(VALU_DEP_4) | instskip(SKIP_1) | instid1(VALU_DEP_3)
	v_mul_f64_e32 v[2:3], 0.5, v[2:3]
	s_wait_loadcnt 0x0
	v_mul_f64_e32 v[4:5], v[6:7], v[10:11]
	s_delay_alu instid0(VALU_DEP_2) | instskip(SKIP_1) | instid1(VALU_DEP_3)
	v_fma_f64 v[15:16], v[13:14], v[10:11], v[2:3]
	v_fma_f64 v[10:11], v[13:14], v[10:11], -v[2:3]
	v_fma_f64 v[17:18], v[0:1], 0.5, v[4:5]
	v_fma_f64 v[4:5], v[0:1], 0.5, -v[4:5]
	s_delay_alu instid0(VALU_DEP_4) | instskip(NEXT) | instid1(VALU_DEP_4)
	v_fma_f64 v[2:3], -v[8:9], v[6:7], v[15:16]
	v_fma_f64 v[6:7], -v[8:9], v[6:7], v[10:11]
	s_delay_alu instid0(VALU_DEP_4) | instskip(NEXT) | instid1(VALU_DEP_4)
	v_fma_f64 v[0:1], v[13:14], v[8:9], v[17:18]
	v_fma_f64 v[4:5], -v[13:14], v[8:9], v[4:5]
	ds_store_b128 v76, v[0:3]
	ds_store_b128 v12, v[4:7] offset:256
	s_and_saveexec_b32 s3, s2
	s_cbranch_execz .LBB0_14
; %bb.13:
	ds_load_b128 v[0:3], v72 offset:192
	ds_load_b128 v[4:7], v72 offset:224
	s_load_b128 s[4:7], s[6:7], 0x190
	s_wait_dscnt 0x0
	v_add_f64_e64 v[8:9], v[0:1], -v[4:5]
	v_add_f64_e32 v[10:11], v[2:3], v[6:7]
	v_add_f64_e64 v[2:3], v[2:3], -v[6:7]
	v_add_f64_e32 v[0:1], v[0:1], v[4:5]
	s_delay_alu instid0(VALU_DEP_4) | instskip(NEXT) | instid1(VALU_DEP_4)
	v_mul_f64_e32 v[6:7], 0.5, v[8:9]
	v_mul_f64_e32 v[8:9], 0.5, v[10:11]
	s_delay_alu instid0(VALU_DEP_4) | instskip(SKIP_1) | instid1(VALU_DEP_3)
	v_mul_f64_e32 v[2:3], 0.5, v[2:3]
	s_wait_kmcnt 0x0
	v_mul_f64_e32 v[4:5], s[6:7], v[6:7]
	s_delay_alu instid0(VALU_DEP_2) | instskip(SKIP_1) | instid1(VALU_DEP_3)
	v_fma_f64 v[10:11], v[8:9], s[6:7], v[2:3]
	v_fma_f64 v[12:13], v[8:9], s[6:7], -v[2:3]
	v_fma_f64 v[14:15], v[0:1], 0.5, v[4:5]
	v_fma_f64 v[4:5], v[0:1], 0.5, -v[4:5]
	s_delay_alu instid0(VALU_DEP_4) | instskip(NEXT) | instid1(VALU_DEP_4)
	v_fma_f64 v[2:3], -s[4:5], v[6:7], v[10:11]
	v_fma_f64 v[6:7], -s[4:5], v[6:7], v[12:13]
	s_delay_alu instid0(VALU_DEP_4) | instskip(NEXT) | instid1(VALU_DEP_4)
	v_fma_f64 v[0:1], v[8:9], s[4:5], v[14:15]
	v_fma_f64 v[4:5], -v[8:9], s[4:5], v[4:5]
	ds_store_b128 v72, v[0:3] offset:192
	ds_store_b128 v72, v[4:7] offset:224
.LBB0_14:
	s_wait_alu 0xfffe
	s_or_b32 exec_lo, exec_lo, s3
	global_wb scope:SCOPE_SE
	s_wait_dscnt 0x0
	s_barrier_signal -1
	s_barrier_wait -1
	global_inv scope:SCOPE_SE
	s_and_saveexec_b32 s2, vcc_lo
	s_cbranch_execz .LBB0_17
; %bb.15:
	v_mad_co_u64_u32 v[0:1], null, s8, v58, 0
	s_load_b64 s[0:1], s[0:1], 0x58
	v_mov_b32_e32 v57, 0
	v_add_nc_u32_e32 v19, 2, v56
	v_add_nc_u32_e32 v21, 4, v56
	;; [unrolled: 1-line block ×3, first 2 shown]
	s_delay_alu instid0(VALU_DEP_4)
	v_dual_mov_b32 v28, v57 :: v_dual_add_nc_u32 v27, 8, v56
	v_mad_co_u64_u32 v[1:2], null, s9, v58, v[1:2]
	v_lshl_add_u32 v2, v56, 4, v72
	v_mov_b32_e32 v20, v57
	v_lshlrev_b64_e32 v[25:26], 4, v[56:57]
	ds_load_b128 v[3:6], v2
	ds_load_b128 v[7:10], v2 offset:32
	v_lshlrev_b64_e32 v[0:1], 4, v[0:1]
	ds_load_b128 v[11:14], v2 offset:64
	ds_load_b128 v[15:18], v2 offset:96
	v_mov_b32_e32 v22, v57
	v_lshlrev_b64_e32 v[19:20], 4, v[19:20]
	v_dual_mov_b32 v24, v57 :: v_dual_add_nc_u32 v29, 18, v56
	s_wait_kmcnt 0x0
	v_add_co_u32 v0, vcc_lo, s0, v0
	v_add_co_ci_u32_e32 v1, vcc_lo, s1, v1, vcc_lo
	v_lshlrev_b64_e32 v[21:22], 4, v[21:22]
	s_delay_alu instid0(VALU_DEP_3) | instskip(SKIP_1) | instid1(VALU_DEP_3)
	v_add_co_u32 v25, vcc_lo, v0, v25
	s_wait_alu 0xfffd
	v_add_co_ci_u32_e32 v26, vcc_lo, v1, v26, vcc_lo
	v_lshlrev_b64_e32 v[23:24], 4, v[23:24]
	v_add_co_u32 v19, vcc_lo, v0, v19
	s_wait_alu 0xfffd
	v_add_co_ci_u32_e32 v20, vcc_lo, v1, v20, vcc_lo
	v_add_co_u32 v21, vcc_lo, v0, v21
	s_wait_alu 0xfffd
	v_add_co_ci_u32_e32 v22, vcc_lo, v1, v22, vcc_lo
	v_add_co_u32 v23, vcc_lo, v0, v23
	s_wait_alu 0xfffd
	v_add_co_ci_u32_e32 v24, vcc_lo, v1, v24, vcc_lo
	s_wait_dscnt 0x3
	global_store_b128 v[25:26], v[3:6], off
	s_wait_dscnt 0x2
	global_store_b128 v[19:20], v[7:10], off
	;; [unrolled: 2-line block ×4, first 2 shown]
	v_lshlrev_b64_e32 v[3:4], 4, v[27:28]
	v_dual_mov_b32 v12, v57 :: v_dual_add_nc_u32 v11, 10, v56
	v_dual_mov_b32 v14, v57 :: v_dual_add_nc_u32 v13, 12, v56
	;; [unrolled: 1-line block ×3, first 2 shown]
	s_delay_alu instid0(VALU_DEP_4)
	v_add_co_u32 v19, vcc_lo, v0, v3
	s_wait_alu 0xfffd
	v_add_co_ci_u32_e32 v20, vcc_lo, v1, v4, vcc_lo
	ds_load_b128 v[3:6], v2 offset:128
	ds_load_b128 v[7:10], v2 offset:160
	v_lshlrev_b64_e32 v[21:22], 4, v[11:12]
	v_lshlrev_b64_e32 v[23:24], 4, v[13:14]
	ds_load_b128 v[11:14], v2 offset:192
	ds_load_b128 v[15:18], v2 offset:224
	v_lshlrev_b64_e32 v[25:26], 4, v[25:26]
	v_dual_mov_b32 v30, v57 :: v_dual_add_nc_u32 v27, 16, v56
	v_add_co_u32 v21, vcc_lo, v0, v21
	s_wait_alu 0xfffd
	v_add_co_ci_u32_e32 v22, vcc_lo, v1, v22, vcc_lo
	v_add_co_u32 v23, vcc_lo, v0, v23
	s_wait_alu 0xfffd
	v_add_co_ci_u32_e32 v24, vcc_lo, v1, v24, vcc_lo
	v_add_co_u32 v25, vcc_lo, v0, v25
	v_lshlrev_b64_e32 v[27:28], 4, v[27:28]
	s_wait_alu 0xfffd
	v_add_co_ci_u32_e32 v26, vcc_lo, v1, v26, vcc_lo
	s_wait_dscnt 0x3
	global_store_b128 v[19:20], v[3:6], off
	s_wait_dscnt 0x2
	global_store_b128 v[21:22], v[7:10], off
	;; [unrolled: 2-line block ×4, first 2 shown]
	v_mov_b32_e32 v12, v57
	v_lshlrev_b64_e32 v[3:4], 4, v[29:30]
	v_add_co_u32 v23, vcc_lo, v0, v27
	v_dual_mov_b32 v20, v57 :: v_dual_add_nc_u32 v11, 20, v56
	s_wait_alu 0xfffd
	v_add_co_ci_u32_e32 v24, vcc_lo, v1, v28, vcc_lo
	s_delay_alu instid0(VALU_DEP_4)
	v_add_co_u32 v25, vcc_lo, v0, v3
	v_dual_mov_b32 v32, v57 :: v_dual_add_nc_u32 v19, 22, v56
	s_wait_alu 0xfffd
	v_add_co_ci_u32_e32 v26, vcc_lo, v1, v4, vcc_lo
	ds_load_b128 v[3:6], v2 offset:256
	ds_load_b128 v[7:10], v2 offset:288
	v_lshlrev_b64_e32 v[27:28], 4, v[11:12]
	ds_load_b128 v[11:14], v2 offset:320
	ds_load_b128 v[15:18], v2 offset:352
	v_add_nc_u32_e32 v31, 24, v56
	v_lshlrev_b64_e32 v[29:30], 4, v[19:20]
	ds_load_b128 v[19:22], v2 offset:384
	v_add_co_u32 v27, vcc_lo, v0, v27
	v_lshlrev_b64_e32 v[31:32], 4, v[31:32]
	s_wait_alu 0xfffd
	v_add_co_ci_u32_e32 v28, vcc_lo, v1, v28, vcc_lo
	v_add_co_u32 v29, vcc_lo, v0, v29
	s_wait_alu 0xfffd
	v_add_co_ci_u32_e32 v30, vcc_lo, v1, v30, vcc_lo
	v_add_co_u32 v31, vcc_lo, v0, v31
	s_wait_alu 0xfffd
	v_add_co_ci_u32_e32 v32, vcc_lo, v1, v32, vcc_lo
	v_cmp_eq_u32_e32 vcc_lo, 1, v56
	s_wait_dscnt 0x4
	global_store_b128 v[23:24], v[3:6], off
	s_wait_dscnt 0x3
	global_store_b128 v[25:26], v[7:10], off
	;; [unrolled: 2-line block ×5, first 2 shown]
	s_and_b32 exec_lo, exec_lo, vcc_lo
	s_cbranch_execz .LBB0_17
; %bb.16:
	ds_load_b128 v[2:5], v2 offset:400
	s_wait_dscnt 0x0
	global_store_b128 v[0:1], v[2:5], off offset:416
.LBB0_17:
	s_nop 0
	s_sendmsg sendmsg(MSG_DEALLOC_VGPRS)
	s_endpgm
	.section	.rodata,"a",@progbits
	.p2align	6, 0x0
	.amdhsa_kernel fft_rtc_back_len26_factors_13_2_wgs_64_tpt_2_dim1_dp_op_CI_CI_unitstride_sbrr_R2C_dirReg
		.amdhsa_group_segment_fixed_size 0
		.amdhsa_private_segment_fixed_size 0
		.amdhsa_kernarg_size 96
		.amdhsa_user_sgpr_count 2
		.amdhsa_user_sgpr_dispatch_ptr 0
		.amdhsa_user_sgpr_queue_ptr 0
		.amdhsa_user_sgpr_kernarg_segment_ptr 1
		.amdhsa_user_sgpr_dispatch_id 0
		.amdhsa_user_sgpr_private_segment_size 0
		.amdhsa_wavefront_size32 1
		.amdhsa_uses_dynamic_stack 0
		.amdhsa_enable_private_segment 0
		.amdhsa_system_sgpr_workgroup_id_x 1
		.amdhsa_system_sgpr_workgroup_id_y 0
		.amdhsa_system_sgpr_workgroup_id_z 0
		.amdhsa_system_sgpr_workgroup_info 0
		.amdhsa_system_vgpr_workitem_id 0
		.amdhsa_next_free_vgpr 246
		.amdhsa_next_free_sgpr 44
		.amdhsa_reserve_vcc 1
		.amdhsa_float_round_mode_32 0
		.amdhsa_float_round_mode_16_64 0
		.amdhsa_float_denorm_mode_32 3
		.amdhsa_float_denorm_mode_16_64 3
		.amdhsa_fp16_overflow 0
		.amdhsa_workgroup_processor_mode 1
		.amdhsa_memory_ordered 1
		.amdhsa_forward_progress 0
		.amdhsa_round_robin_scheduling 0
		.amdhsa_exception_fp_ieee_invalid_op 0
		.amdhsa_exception_fp_denorm_src 0
		.amdhsa_exception_fp_ieee_div_zero 0
		.amdhsa_exception_fp_ieee_overflow 0
		.amdhsa_exception_fp_ieee_underflow 0
		.amdhsa_exception_fp_ieee_inexact 0
		.amdhsa_exception_int_div_zero 0
	.end_amdhsa_kernel
	.text
.Lfunc_end0:
	.size	fft_rtc_back_len26_factors_13_2_wgs_64_tpt_2_dim1_dp_op_CI_CI_unitstride_sbrr_R2C_dirReg, .Lfunc_end0-fft_rtc_back_len26_factors_13_2_wgs_64_tpt_2_dim1_dp_op_CI_CI_unitstride_sbrr_R2C_dirReg
                                        ; -- End function
	.section	.AMDGPU.csdata,"",@progbits
; Kernel info:
; codeLenInByte = 6776
; NumSgprs: 46
; NumVgprs: 246
; ScratchSize: 0
; MemoryBound: 0
; FloatMode: 240
; IeeeMode: 1
; LDSByteSize: 0 bytes/workgroup (compile time only)
; SGPRBlocks: 5
; VGPRBlocks: 30
; NumSGPRsForWavesPerEU: 46
; NumVGPRsForWavesPerEU: 246
; Occupancy: 5
; WaveLimiterHint : 1
; COMPUTE_PGM_RSRC2:SCRATCH_EN: 0
; COMPUTE_PGM_RSRC2:USER_SGPR: 2
; COMPUTE_PGM_RSRC2:TRAP_HANDLER: 0
; COMPUTE_PGM_RSRC2:TGID_X_EN: 1
; COMPUTE_PGM_RSRC2:TGID_Y_EN: 0
; COMPUTE_PGM_RSRC2:TGID_Z_EN: 0
; COMPUTE_PGM_RSRC2:TIDIG_COMP_CNT: 0
	.text
	.p2alignl 7, 3214868480
	.fill 96, 4, 3214868480
	.type	__hip_cuid_828374621db9a91e,@object ; @__hip_cuid_828374621db9a91e
	.section	.bss,"aw",@nobits
	.globl	__hip_cuid_828374621db9a91e
__hip_cuid_828374621db9a91e:
	.byte	0                               ; 0x0
	.size	__hip_cuid_828374621db9a91e, 1

	.ident	"AMD clang version 19.0.0git (https://github.com/RadeonOpenCompute/llvm-project roc-6.4.0 25133 c7fe45cf4b819c5991fe208aaa96edf142730f1d)"
	.section	".note.GNU-stack","",@progbits
	.addrsig
	.addrsig_sym __hip_cuid_828374621db9a91e
	.amdgpu_metadata
---
amdhsa.kernels:
  - .args:
      - .actual_access:  read_only
        .address_space:  global
        .offset:         0
        .size:           8
        .value_kind:     global_buffer
      - .actual_access:  read_only
        .address_space:  global
        .offset:         8
        .size:           8
        .value_kind:     global_buffer
      - .actual_access:  read_only
        .address_space:  global
        .offset:         16
        .size:           8
        .value_kind:     global_buffer
      - .actual_access:  read_only
        .address_space:  global
        .offset:         24
        .size:           8
        .value_kind:     global_buffer
      - .offset:         32
        .size:           8
        .value_kind:     by_value
      - .actual_access:  read_only
        .address_space:  global
        .offset:         40
        .size:           8
        .value_kind:     global_buffer
      - .actual_access:  read_only
        .address_space:  global
        .offset:         48
        .size:           8
        .value_kind:     global_buffer
      - .offset:         56
        .size:           4
        .value_kind:     by_value
      - .actual_access:  read_only
        .address_space:  global
        .offset:         64
        .size:           8
        .value_kind:     global_buffer
      - .actual_access:  read_only
        .address_space:  global
        .offset:         72
        .size:           8
        .value_kind:     global_buffer
      - .actual_access:  read_only
        .address_space:  global
        .offset:         80
        .size:           8
        .value_kind:     global_buffer
      - .actual_access:  write_only
        .address_space:  global
        .offset:         88
        .size:           8
        .value_kind:     global_buffer
    .group_segment_fixed_size: 0
    .kernarg_segment_align: 8
    .kernarg_segment_size: 96
    .language:       OpenCL C
    .language_version:
      - 2
      - 0
    .max_flat_workgroup_size: 64
    .name:           fft_rtc_back_len26_factors_13_2_wgs_64_tpt_2_dim1_dp_op_CI_CI_unitstride_sbrr_R2C_dirReg
    .private_segment_fixed_size: 0
    .sgpr_count:     46
    .sgpr_spill_count: 0
    .symbol:         fft_rtc_back_len26_factors_13_2_wgs_64_tpt_2_dim1_dp_op_CI_CI_unitstride_sbrr_R2C_dirReg.kd
    .uniform_work_group_size: 1
    .uses_dynamic_stack: false
    .vgpr_count:     246
    .vgpr_spill_count: 0
    .wavefront_size: 32
    .workgroup_processor_mode: 1
amdhsa.target:   amdgcn-amd-amdhsa--gfx1201
amdhsa.version:
  - 1
  - 2
...

	.end_amdgpu_metadata
